;; amdgpu-corpus repo=zjin-lcf/HeCBench kind=compiled arch=gfx906 opt=O3
	.amdgcn_target "amdgcn-amd-amdhsa--gfx906"
	.amdhsa_code_object_version 6
	.text
	.protected	_Z3spmPKfiPKhS2_15HIP_vector_typeIiLj3EES4_PhS5_Pb ; -- Begin function _Z3spmPKfiPKhS2_15HIP_vector_typeIiLj3EES4_PhS5_Pb
	.globl	_Z3spmPKfiPKhS2_15HIP_vector_typeIiLj3EES4_PhS5_Pb
	.p2align	8
	.type	_Z3spmPKfiPKhS2_15HIP_vector_typeIiLj3EES4_PhS5_Pb,@function
_Z3spmPKfiPKhS2_15HIP_vector_typeIiLj3EES4_PhS5_Pb: ; @_Z3spmPKfiPKhS2_15HIP_vector_typeIiLj3EES4_PhS5_Pb
; %bb.0:
	s_load_dword s33, s[4:5], 0x8
	v_lshl_add_u32 v0, s6, 7, v0
	s_waitcnt lgkmcnt(0)
	v_cmp_gt_i32_e32 vcc, s33, v0
	s_and_saveexec_b64 s[0:1], vcc
	s_cbranch_execz .LBB0_11
; %bb.1:
	s_load_dwordx2 s[6:7], s[4:5], 0x48
	s_load_dwordx4 s[8:11], s[4:5], 0x38
	s_load_dwordx2 s[16:17], s[4:5], 0x20
	s_load_dwordx2 s[0:1], s[4:5], 0x0
	s_load_dwordx4 s[12:15], s[4:5], 0x10
	s_load_dwordx2 s[18:19], s[4:5], 0x2c
	s_load_dword s2, s[4:5], 0x34
	s_waitcnt lgkmcnt(0)
	s_add_i32 s3, s16, -2
	s_add_i32 s26, s17, -2
	s_abs_i32 s43, s3
	v_cvt_f32_u32_e32 v1, s43
	s_abs_i32 s44, s26
	v_cvt_f32_u32_e32 v2, s44
	s_load_dwordx2 s[4:5], s[0:1], 0x0
	s_load_dword s38, s[0:1], 0x8
	s_load_dwordx2 s[20:21], s[0:1], 0x10
	s_load_dword s39, s[0:1], 0x18
	;; [unrolled: 2-line block ×4, first 2 shown]
	v_rcp_iflag_f32_e32 v1, v1
	s_sub_i32 s0, 0, s43
	v_rcp_iflag_f32_e32 v2, v2
	v_cvt_f32_i32_e32 v4, s3
	v_mul_f32_e32 v1, 0x4f7ffffe, v1
	v_cvt_u32_f32_e32 v1, v1
	v_mul_f32_e32 v2, 0x4f7ffffe, v2
	v_cvt_u32_f32_e32 v2, v2
	v_cvt_f32_i32_e32 v5, s26
	v_mul_lo_u32 v3, s0, v1
	s_sub_i32 s0, 0, s44
	v_mul_lo_u32 v9, s0, v2
	v_cvt_f32_i32_e32 v6, s2
	v_mul_hi_u32 v3, v1, v3
	v_cvt_f32_i32_e32 v7, s19
	v_mul_hi_u32 v10, v2, v9
	v_cvt_f32_i32_e32 v8, s18
	s_mul_i32 s46, s19, s18
	s_mul_i32 s50, s17, s16
	s_ashr_i32 s42, s18, 31
	s_mov_b32 s45, s18
	s_ashr_i32 s47, s46, 31
	s_ashr_i32 s48, s16, 31
	s_mov_b32 s49, s16
	s_ashr_i32 s51, s50, 31
	v_add_u32_e32 v9, v1, v3
	v_add_u32_e32 v10, v2, v10
	v_ashrrev_i32_e32 v1, 31, v0
	s_mov_b64 s[26:27], 0
	s_mov_b32 s52, 0x151d07eb
	s_movk_i32 s53, 0x61
	s_branch .LBB0_3
.LBB0_2:                                ;   in Loop: Header=BB0_3 Depth=1
	s_or_b64 exec, exec, s[0:1]
	v_mov_b32_e32 v12, s11
	v_add_co_u32_e32 v14, vcc, s10, v2
	v_addc_co_u32_e32 v15, vcc, v12, v3, vcc
	v_mov_b32_e32 v12, s7
	v_add_co_u32_e32 v2, vcc, s6, v2
	v_addc_co_u32_e32 v3, vcc, v12, v3, vcc
	v_add_co_u32_e32 v0, vcc, 0x8000, v0
	v_cmp_le_i32_e64 s[0:1], s33, v0
	s_or_b64 s[26:27], s[0:1], s[26:27]
	v_addc_co_u32_e32 v1, vcc, 0, v1, vcc
	global_store_byte v[14:15], v13, off
	global_store_byte v[2:3], v11, off
	s_andn2_b64 exec, exec, s[26:27]
	s_cbranch_execz .LBB0_11
.LBB0_3:                                ; =>This Inner Loop Header: Depth=1
	v_mul_hi_i32 v2, v0, s52
	v_cvt_f32_i32_e32 v11, v0
	v_lshrrev_b32_e32 v3, 31, v2
	v_ashrrev_i32_e32 v2, 3, v2
	v_add_u32_e32 v2, v2, v3
	v_mul_lo_u32 v2, v2, s53
	v_div_scale_f32 v12, s[0:1], v4, v4, v11
	s_getpc_b64 s[0:1]
	s_add_u32 s0, s0, __const._Z3spmPKfiPKhS2_15HIP_vector_typeIiLj3EES4_PhS5_Pb.ran@rel32@lo+4
	s_addc_u32 s1, s1, __const._Z3spmPKfiPKhS2_15HIP_vector_typeIiLj3EES4_PhS5_Pb.ran@rel32@hi+12
	v_sub_u32_e32 v2, v0, v2
	v_ashrrev_i32_e32 v3, 31, v2
	v_lshlrev_b64 v[2:3], 2, v[2:3]
	v_mov_b32_e32 v14, s1
	v_add_co_u32_e64 v2, s[0:1], s0, v2
	v_div_scale_f32 v13, vcc, v11, v4, v11
	v_addc_co_u32_e64 v3, s[0:1], v14, v3, s[0:1]
	global_load_dword v2, v[2:3], off
	v_rcp_f32_e32 v3, v12
	v_fma_f32 v14, -v12, v3, 1.0
	v_fmac_f32_e32 v3, v14, v3
	v_mul_f32_e32 v14, v13, v3
	v_fma_f32 v15, -v12, v14, v13
	v_fmac_f32_e32 v14, v15, v3
	v_fma_f32 v12, -v12, v14, v13
	v_div_fmas_f32 v3, v12, v3, v14
	v_sub_u32_e32 v12, 0, v0
	v_max_i32_e32 v12, v0, v12
	v_mul_hi_u32 v13, v12, v9
	v_mul_lo_u32 v13, v13, s43
	v_sub_u32_e32 v12, v12, v13
	v_subrev_u32_e32 v13, s43, v12
	v_div_fixup_f32 v3, v3, v4, v11
	v_floor_f32_e32 v11, v3
	v_div_scale_f32 v14, s[0:1], v5, v5, v11
	v_div_scale_f32 v15, vcc, v11, v5, v11
	v_cvt_i32_f32_e32 v16, v11
	v_cmp_le_u32_e64 s[0:1], s43, v12
	v_cndmask_b32_e64 v12, v12, v13, s[0:1]
	v_subrev_u32_e32 v13, s43, v12
	v_cmp_le_u32_e64 s[0:1], s43, v12
	v_cndmask_b32_e64 v12, v12, v13, s[0:1]
	v_sub_u32_e32 v13, 0, v16
	v_max_i32_e32 v13, v16, v13
	v_mul_hi_u32 v17, v13, v10
	v_ashrrev_i32_e32 v3, 31, v0
	v_xor_b32_e32 v12, v12, v3
	v_sub_u32_e32 v12, v12, v3
	v_rcp_f32_e32 v18, v14
	v_mul_lo_u32 v17, v17, s44
	v_cvt_f32_i32_e32 v12, v12
	v_fma_f32 v19, -v14, v18, 1.0
	v_fmac_f32_e32 v18, v19, v18
	v_mul_f32_e32 v19, v15, v18
	v_fma_f32 v20, -v14, v19, v15
	v_fmac_f32_e32 v19, v20, v18
	v_fma_f32 v14, -v14, v19, v15
	v_div_fmas_f32 v14, v14, v18, v19
	v_sub_u32_e32 v13, v13, v17
	v_ashrrev_i32_e32 v15, 31, v16
	v_subrev_u32_e32 v16, s44, v13
	v_cmp_le_u32_e32 vcc, s44, v13
	v_cndmask_b32_e32 v13, v13, v16, vcc
	v_subrev_u32_e32 v16, s44, v13
	v_cmp_le_u32_e32 vcc, s44, v13
	v_cndmask_b32_e32 v13, v13, v16, vcc
	v_xor_b32_e32 v13, v13, v15
	v_sub_u32_e32 v13, v13, v15
	v_cvt_f32_i32_e32 v13, v13
	v_add_f32_e32 v12, 1.0, v12
	v_add_f32_e32 v13, 1.0, v13
	v_div_fixup_f32 v11, v14, v5, v11
	v_add_f32_e32 v14, 1.0, v11
	s_waitcnt vmcnt(0)
	v_add_f32_e32 v11, v12, v2
	v_add_f32_e32 v12, v2, v13
	;; [unrolled: 1-line block ×3, first 2 shown]
	s_waitcnt lgkmcnt(0)
	v_mul_f32_e32 v2, s39, v12
	v_fmac_f32_e32 v2, s38, v11
	v_fmac_f32_e32 v2, s40, v14
	v_add_f32_e32 v15, s41, v2
	v_cmp_nle_f32_e64 s[28:29], 1.0, v15
	v_cmp_le_f32_e32 vcc, 1.0, v15
                                        ; implicit-def: $vgpr13
	s_and_saveexec_b64 s[30:31], vcc
	s_cbranch_execz .LBB0_9
; %bb.4:                                ;   in Loop: Header=BB0_3 Depth=1
	v_mul_f32_e32 v2, s21, v12
	v_fmac_f32_e32 v2, s5, v11
	v_fmac_f32_e32 v2, s23, v14
	v_add_f32_e32 v16, s25, v2
	v_cmp_lt_f32_e32 vcc, v15, v6
	v_cmp_le_f32_e64 s[0:1], 1.0, v16
	s_and_b64 s[0:1], vcc, s[0:1]
	s_xor_b64 s[34:35], s[0:1], -1
                                        ; implicit-def: $vgpr13
	s_and_saveexec_b64 s[36:37], s[0:1]
	s_cbranch_execz .LBB0_8
; %bb.5:                                ;   in Loop: Header=BB0_3 Depth=1
	v_mul_f32_e32 v2, s20, v12
	v_fmac_f32_e32 v2, s4, v11
	v_fmac_f32_e32 v2, s22, v14
	v_add_f32_e32 v2, s24, v2
	v_cmp_lt_f32_e32 vcc, v16, v7
	v_cmp_lt_f32_e64 s[2:3], v2, v8
	v_cmp_le_f32_e64 s[0:1], 1.0, v2
	s_and_b64 s[2:3], vcc, s[2:3]
	s_and_b64 s[54:55], s[2:3], s[0:1]
	s_mov_b64 s[2:3], -1
                                        ; implicit-def: $vgpr13
	s_and_saveexec_b64 s[0:1], s[54:55]
	s_cbranch_execz .LBB0_7
; %bb.6:                                ;   in Loop: Header=BB0_3 Depth=1
	v_floor_f32_e32 v17, v16
	v_cvt_i32_f32_e32 v17, v17
	v_floor_f32_e32 v13, v2
	v_cvt_i32_f32_e32 v13, v13
	s_xor_b64 s[2:3], exec, -1
	v_cvt_f32_i32_e32 v18, v17
	v_cvt_f32_i32_e32 v23, v13
	v_sub_f32_e32 v24, v16, v18
	v_floor_f32_e32 v16, v15
	v_cvt_i32_f32_e32 v16, v16
	v_sub_f32_e32 v2, v2, v23
	v_sub_f32_e32 v25, 1.0, v24
	v_cvt_f32_i32_e32 v18, v16
	v_sub_f32_e32 v26, v15, v18
	v_ashrrev_i32_e32 v15, 31, v13
	v_add_co_u32_e32 v13, vcc, s14, v13
	v_mov_b32_e32 v18, s15
	v_addc_co_u32_e32 v18, vcc, v18, v15, vcc
	v_add_u32_e32 v15, -1, v16
	v_mul_lo_u32 v15, v15, s19
	v_sub_f32_e32 v27, 1.0, v26
	v_add3_u32 v15, v17, v15, -1
	v_mul_lo_u32 v15, v15, s18
	v_ashrrev_i32_e32 v16, 31, v15
	v_add_co_u32_e32 v15, vcc, v13, v15
	v_addc_co_u32_e32 v16, vcc, v18, v16, vcc
	v_add_co_u32_e32 v17, vcc, s45, v15
	v_mov_b32_e32 v13, s42
	v_addc_co_u32_e32 v18, vcc, v16, v13, vcc
	v_add_co_u32_e32 v19, vcc, s46, v15
	v_mov_b32_e32 v13, s47
	;; [unrolled: 3-line block ×3, first 2 shown]
	v_addc_co_u32_e32 v22, vcc, v20, v13, vcc
	global_load_ushort v13, v[15:16], off offset:-1
	s_waitcnt vmcnt(0)
	v_cvt_f32_ubyte0_e32 v15, v13
	global_load_ushort v16, v[17:18], off offset:-1
	v_cvt_f32_ubyte1_e32 v13, v13
	v_sub_f32_e32 v18, 1.0, v2
	v_mul_f32_e32 v13, v2, v13
	v_fmac_f32_e32 v13, v18, v15
	s_waitcnt vmcnt(0)
	v_cvt_f32_ubyte0_e32 v17, v16
	v_cvt_f32_ubyte1_e32 v16, v16
	v_mul_f32_e32 v15, v2, v16
	v_fmac_f32_e32 v15, v18, v17
	v_mul_f32_e32 v15, v24, v15
	v_fmac_f32_e32 v15, v25, v13
	global_load_ushort v13, v[19:20], off offset:-1
	s_waitcnt vmcnt(0)
	v_cvt_f32_ubyte0_e32 v16, v13
	v_cvt_f32_ubyte1_e32 v13, v13
	v_mul_f32_e32 v13, v2, v13
	v_fmac_f32_e32 v13, v18, v16
	global_load_ushort v16, v[21:22], off offset:-1
	v_mov_b32_e32 v21, s13
	s_waitcnt vmcnt(0)
	v_cvt_f32_ubyte0_e32 v17, v16
	v_cvt_f32_ubyte1_e32 v16, v16
	v_mul_f32_e32 v2, v2, v16
	v_fmac_f32_e32 v2, v18, v17
	v_mul_f32_e32 v2, v24, v2
	v_fmac_f32_e32 v2, v25, v13
	;; [unrolled: 2-line block ×3, first 2 shown]
	v_add_f32_e32 v2, 0.5, v2
	v_floor_f32_e32 v2, v2
	v_cvt_i32_f32_e32 v13, v2
	v_add_co_u32_e32 v15, vcc, s8, v0
	v_mov_b32_e32 v16, s9
	v_addc_co_u32_e32 v16, vcc, v16, v1, vcc
	global_store_byte v[15:16], v13, off
	v_floor_f32_e32 v15, v14
	v_cvt_i32_f32_e32 v19, v15
	v_floor_f32_e32 v13, v11
	v_cvt_i32_f32_e32 v16, v13
	v_floor_f32_e32 v13, v12
	v_cvt_f32_i32_e32 v15, v19
	v_add_u32_e32 v19, -1, v19
	v_cvt_i32_f32_e32 v18, v13
	v_mul_lo_u32 v19, v19, s17
	v_cvt_f32_i32_e32 v17, v16
	v_ashrrev_i32_e32 v20, 31, v16
	v_cvt_f32_i32_e32 v13, v18
	v_add3_u32 v18, v18, v19, -1
	v_mul_lo_u32 v18, v18, s16
	v_add_co_u32_e32 v16, vcc, s12, v16
	v_addc_co_u32_e32 v20, vcc, v21, v20, vcc
	v_ashrrev_i32_e32 v19, 31, v18
	v_add_co_u32_e32 v18, vcc, v16, v18
	v_addc_co_u32_e32 v19, vcc, v20, v19, vcc
	v_add_co_u32_e32 v20, vcc, s49, v18
	v_mov_b32_e32 v16, s48
	v_addc_co_u32_e32 v21, vcc, v19, v16, vcc
	global_load_ushort v24, v[20:21], off offset:-1
	v_add_co_u32_e32 v20, vcc, s50, v18
	v_mov_b32_e32 v16, s51
	v_addc_co_u32_e32 v21, vcc, v19, v16, vcc
	v_add_co_u32_e32 v22, vcc, s49, v20
	v_mov_b32_e32 v16, s48
	v_addc_co_u32_e32 v23, vcc, v21, v16, vcc
	global_load_ushort v16, v[22:23], off offset:-1
	s_nop 0
	global_load_ushort v18, v[18:19], off offset:-1
	v_sub_f32_e32 v13, v12, v13
	v_sub_f32_e32 v12, 1.0, v13
	v_sub_f32_e32 v15, v14, v15
	v_sub_f32_e32 v14, 1.0, v15
	v_mov_b32_e32 v2, v0
	s_waitcnt vmcnt(2)
	v_cvt_f32_ubyte0_e32 v23, v24
	v_cvt_f32_ubyte1_e32 v24, v24
	s_waitcnt vmcnt(0)
	v_cvt_f32_ubyte0_e32 v19, v18
	v_cvt_f32_ubyte1_e32 v22, v18
	v_sub_f32_e32 v18, v11, v17
	v_sub_f32_e32 v17, 1.0, v18
	v_mul_f32_e32 v22, v18, v22
	v_fmac_f32_e32 v22, v17, v19
	global_load_ushort v19, v[20:21], off offset:-1
	v_mul_f32_e32 v11, v18, v24
	v_fmac_f32_e32 v11, v17, v23
	v_mul_f32_e32 v11, v13, v11
	v_fmac_f32_e32 v11, v12, v22
	s_waitcnt vmcnt(0)
	v_cvt_f32_ubyte0_e32 v20, v19
	v_cvt_f32_ubyte1_e32 v19, v19
	v_mul_f32_e32 v19, v18, v19
	v_fmac_f32_e32 v19, v17, v20
	v_cvt_f32_ubyte0_e32 v20, v16
	v_cvt_f32_ubyte1_e32 v16, v16
	v_mul_f32_e32 v16, v18, v16
	v_fmac_f32_e32 v16, v17, v20
	v_mul_f32_e32 v13, v13, v16
	v_fmac_f32_e32 v13, v12, v19
	;; [unrolled: 2-line block ×3, first 2 shown]
	v_add_f32_e32 v11, 0.5, v12
	v_floor_f32_e32 v11, v11
	v_cvt_i32_f32_e32 v13, v11
.LBB0_7:                                ;   in Loop: Header=BB0_3 Depth=1
	s_or_b64 exec, exec, s[0:1]
	s_andn2_b64 s[0:1], s[34:35], exec
	s_and_b64 s[2:3], s[2:3], exec
	s_or_b64 s[34:35], s[0:1], s[2:3]
.LBB0_8:                                ;   in Loop: Header=BB0_3 Depth=1
	s_or_b64 exec, exec, s[36:37]
	s_andn2_b64 s[0:1], s[28:29], exec
	s_and_b64 s[2:3], s[34:35], exec
	s_or_b64 s[28:29], s[0:1], s[2:3]
.LBB0_9:                                ;   in Loop: Header=BB0_3 Depth=1
	s_or_b64 exec, exec, s[30:31]
	v_mov_b32_e32 v11, 1
	s_and_saveexec_b64 s[0:1], s[28:29]
	s_cbranch_execz .LBB0_2
; %bb.10:                               ;   in Loop: Header=BB0_3 Depth=1
	v_mov_b32_e32 v3, s9
	v_add_co_u32_e32 v2, vcc, s8, v0
	v_addc_co_u32_e32 v3, vcc, v3, v1, vcc
	v_mov_b32_e32 v13, 0
	global_store_byte v[2:3], v13, off
	v_mov_b32_e32 v3, v1
	v_mov_b32_e32 v2, v0
	;; [unrolled: 1-line block ×3, first 2 shown]
	s_branch .LBB0_2
.LBB0_11:
	s_endpgm
	.section	.rodata,"a",@progbits
	.p2align	6, 0x0
	.amdhsa_kernel _Z3spmPKfiPKhS2_15HIP_vector_typeIiLj3EES4_PhS5_Pb
		.amdhsa_group_segment_fixed_size 0
		.amdhsa_private_segment_fixed_size 0
		.amdhsa_kernarg_size 80
		.amdhsa_user_sgpr_count 6
		.amdhsa_user_sgpr_private_segment_buffer 1
		.amdhsa_user_sgpr_dispatch_ptr 0
		.amdhsa_user_sgpr_queue_ptr 0
		.amdhsa_user_sgpr_kernarg_segment_ptr 1
		.amdhsa_user_sgpr_dispatch_id 0
		.amdhsa_user_sgpr_flat_scratch_init 0
		.amdhsa_user_sgpr_private_segment_size 0
		.amdhsa_uses_dynamic_stack 0
		.amdhsa_system_sgpr_private_segment_wavefront_offset 0
		.amdhsa_system_sgpr_workgroup_id_x 1
		.amdhsa_system_sgpr_workgroup_id_y 0
		.amdhsa_system_sgpr_workgroup_id_z 0
		.amdhsa_system_sgpr_workgroup_info 0
		.amdhsa_system_vgpr_workitem_id 0
		.amdhsa_next_free_vgpr 28
		.amdhsa_next_free_sgpr 56
		.amdhsa_reserve_vcc 1
		.amdhsa_reserve_flat_scratch 0
		.amdhsa_float_round_mode_32 0
		.amdhsa_float_round_mode_16_64 0
		.amdhsa_float_denorm_mode_32 3
		.amdhsa_float_denorm_mode_16_64 3
		.amdhsa_dx10_clamp 1
		.amdhsa_ieee_mode 1
		.amdhsa_fp16_overflow 0
		.amdhsa_exception_fp_ieee_invalid_op 0
		.amdhsa_exception_fp_denorm_src 0
		.amdhsa_exception_fp_ieee_div_zero 0
		.amdhsa_exception_fp_ieee_overflow 0
		.amdhsa_exception_fp_ieee_underflow 0
		.amdhsa_exception_fp_ieee_inexact 0
		.amdhsa_exception_int_div_zero 0
	.end_amdhsa_kernel
	.text
.Lfunc_end0:
	.size	_Z3spmPKfiPKhS2_15HIP_vector_typeIiLj3EES4_PhS5_Pb, .Lfunc_end0-_Z3spmPKfiPKhS2_15HIP_vector_typeIiLj3EES4_PhS5_Pb
                                        ; -- End function
	.set _Z3spmPKfiPKhS2_15HIP_vector_typeIiLj3EES4_PhS5_Pb.num_vgpr, 28
	.set _Z3spmPKfiPKhS2_15HIP_vector_typeIiLj3EES4_PhS5_Pb.num_agpr, 0
	.set _Z3spmPKfiPKhS2_15HIP_vector_typeIiLj3EES4_PhS5_Pb.numbered_sgpr, 56
	.set _Z3spmPKfiPKhS2_15HIP_vector_typeIiLj3EES4_PhS5_Pb.num_named_barrier, 0
	.set _Z3spmPKfiPKhS2_15HIP_vector_typeIiLj3EES4_PhS5_Pb.private_seg_size, 0
	.set _Z3spmPKfiPKhS2_15HIP_vector_typeIiLj3EES4_PhS5_Pb.uses_vcc, 1
	.set _Z3spmPKfiPKhS2_15HIP_vector_typeIiLj3EES4_PhS5_Pb.uses_flat_scratch, 0
	.set _Z3spmPKfiPKhS2_15HIP_vector_typeIiLj3EES4_PhS5_Pb.has_dyn_sized_stack, 0
	.set _Z3spmPKfiPKhS2_15HIP_vector_typeIiLj3EES4_PhS5_Pb.has_recursion, 0
	.set _Z3spmPKfiPKhS2_15HIP_vector_typeIiLj3EES4_PhS5_Pb.has_indirect_call, 0
	.section	.AMDGPU.csdata,"",@progbits
; Kernel info:
; codeLenInByte = 1700
; TotalNumSgprs: 60
; NumVgprs: 28
; ScratchSize: 0
; MemoryBound: 0
; FloatMode: 240
; IeeeMode: 1
; LDSByteSize: 0 bytes/workgroup (compile time only)
; SGPRBlocks: 7
; VGPRBlocks: 6
; NumSGPRsForWavesPerEU: 60
; NumVGPRsForWavesPerEU: 28
; Occupancy: 9
; WaveLimiterHint : 0
; COMPUTE_PGM_RSRC2:SCRATCH_EN: 0
; COMPUTE_PGM_RSRC2:USER_SGPR: 6
; COMPUTE_PGM_RSRC2:TRAP_HANDLER: 0
; COMPUTE_PGM_RSRC2:TGID_X_EN: 1
; COMPUTE_PGM_RSRC2:TGID_Y_EN: 0
; COMPUTE_PGM_RSRC2:TGID_Z_EN: 0
; COMPUTE_PGM_RSRC2:TIDIG_COMP_CNT: 0
	.section	.AMDGPU.gpr_maximums,"",@progbits
	.set amdgpu.max_num_vgpr, 0
	.set amdgpu.max_num_agpr, 0
	.set amdgpu.max_num_sgpr, 0
	.section	.AMDGPU.csdata,"",@progbits
	.type	__const._Z3spmPKfiPKhS2_15HIP_vector_typeIiLj3EES4_PhS5_Pb.ran,@object ; @__const._Z3spmPKfiPKhS2_15HIP_vector_typeIiLj3EES4_PhS5_Pb.ran
	.section	.rodata,"a",@progbits
	.p2align	4, 0x0
__const._Z3spmPKfiPKhS2_15HIP_vector_typeIiLj3EES4_PhS5_Pb.ran:
	.long	0x3f28182f                      ; float 0.656619012
	.long	0x3f642492                      ; float 0.891183018
	;; [unrolled: 1-line block ×97, first 2 shown]
	.size	__const._Z3spmPKfiPKhS2_15HIP_vector_typeIiLj3EES4_PhS5_Pb.ran, 388

	.type	__hip_cuid_adb0ae125a7bcefb,@object ; @__hip_cuid_adb0ae125a7bcefb
	.section	.bss,"aw",@nobits
	.globl	__hip_cuid_adb0ae125a7bcefb
__hip_cuid_adb0ae125a7bcefb:
	.byte	0                               ; 0x0
	.size	__hip_cuid_adb0ae125a7bcefb, 1

	.ident	"AMD clang version 22.0.0git (https://github.com/RadeonOpenCompute/llvm-project roc-7.2.4 26084 f58b06dce1f9c15707c5f808fd002e18c2accf7e)"
	.section	".note.GNU-stack","",@progbits
	.addrsig
	.addrsig_sym __hip_cuid_adb0ae125a7bcefb
	.amdgpu_metadata
---
amdhsa.kernels:
  - .args:
      - .actual_access:  read_only
        .address_space:  global
        .offset:         0
        .size:           8
        .value_kind:     global_buffer
      - .offset:         8
        .size:           4
        .value_kind:     by_value
      - .actual_access:  read_only
        .address_space:  global
        .offset:         16
        .size:           8
        .value_kind:     global_buffer
      - .actual_access:  read_only
        .address_space:  global
        .offset:         24
        .size:           8
        .value_kind:     global_buffer
      - .offset:         32
        .size:           12
        .value_kind:     by_value
      - .offset:         44
        .size:           12
        .value_kind:     by_value
      - .actual_access:  write_only
        .address_space:  global
        .offset:         56
        .size:           8
        .value_kind:     global_buffer
      - .actual_access:  write_only
        .address_space:  global
        .offset:         64
        .size:           8
        .value_kind:     global_buffer
      - .actual_access:  write_only
        .address_space:  global
        .offset:         72
        .size:           8
        .value_kind:     global_buffer
    .group_segment_fixed_size: 0
    .kernarg_segment_align: 8
    .kernarg_segment_size: 80
    .language:       OpenCL C
    .language_version:
      - 2
      - 0
    .max_flat_workgroup_size: 1024
    .name:           _Z3spmPKfiPKhS2_15HIP_vector_typeIiLj3EES4_PhS5_Pb
    .private_segment_fixed_size: 0
    .sgpr_count:     60
    .sgpr_spill_count: 0
    .symbol:         _Z3spmPKfiPKhS2_15HIP_vector_typeIiLj3EES4_PhS5_Pb.kd
    .uniform_work_group_size: 1
    .uses_dynamic_stack: false
    .vgpr_count:     28
    .vgpr_spill_count: 0
    .wavefront_size: 64
amdhsa.target:   amdgcn-amd-amdhsa--gfx906
amdhsa.version:
  - 1
  - 2
...

	.end_amdgpu_metadata
